;; amdgpu-corpus repo=ROCm/rocFFT kind=compiled arch=gfx906 opt=O3
	.text
	.amdgcn_target "amdgcn-amd-amdhsa--gfx906"
	.amdhsa_code_object_version 6
	.protected	fft_rtc_back_len1232_factors_2_2_2_2_11_7_wgs_176_tpt_176_halfLds_sp_op_CI_CI_sbrr_dirReg ; -- Begin function fft_rtc_back_len1232_factors_2_2_2_2_11_7_wgs_176_tpt_176_halfLds_sp_op_CI_CI_sbrr_dirReg
	.globl	fft_rtc_back_len1232_factors_2_2_2_2_11_7_wgs_176_tpt_176_halfLds_sp_op_CI_CI_sbrr_dirReg
	.p2align	8
	.type	fft_rtc_back_len1232_factors_2_2_2_2_11_7_wgs_176_tpt_176_halfLds_sp_op_CI_CI_sbrr_dirReg,@function
fft_rtc_back_len1232_factors_2_2_2_2_11_7_wgs_176_tpt_176_halfLds_sp_op_CI_CI_sbrr_dirReg: ; @fft_rtc_back_len1232_factors_2_2_2_2_11_7_wgs_176_tpt_176_halfLds_sp_op_CI_CI_sbrr_dirReg
; %bb.0:
	s_load_dwordx4 s[16:19], s[4:5], 0x18
	s_load_dwordx4 s[12:15], s[4:5], 0x0
	;; [unrolled: 1-line block ×3, first 2 shown]
	v_mul_u32_u24_e32 v1, 0x175, v0
	v_mov_b32_e32 v7, 0
	s_waitcnt lgkmcnt(0)
	s_load_dwordx2 s[2:3], s[16:17], 0x0
	s_load_dwordx2 s[20:21], s[18:19], 0x0
	v_cmp_lt_u64_e64 s[0:1], s[14:15], 2
	v_mov_b32_e32 v5, 0
	v_add_u32_sdwa v9, s6, v1 dst_sel:DWORD dst_unused:UNUSED_PAD src0_sel:DWORD src1_sel:WORD_1
	v_mov_b32_e32 v10, v7
	s_and_b64 vcc, exec, s[0:1]
	v_mov_b32_e32 v6, 0
	s_cbranch_vccnz .LBB0_8
; %bb.1:
	s_load_dwordx2 s[0:1], s[4:5], 0x10
	s_add_u32 s6, s18, 8
	s_addc_u32 s7, s19, 0
	s_add_u32 s22, s16, 8
	s_addc_u32 s23, s17, 0
	v_mov_b32_e32 v5, 0
	s_waitcnt lgkmcnt(0)
	s_add_u32 s24, s0, 8
	v_mov_b32_e32 v6, 0
	v_mov_b32_e32 v1, v5
	s_addc_u32 s25, s1, 0
	s_mov_b64 s[26:27], 1
	v_mov_b32_e32 v2, v6
.LBB0_2:                                ; =>This Inner Loop Header: Depth=1
	s_load_dwordx2 s[28:29], s[24:25], 0x0
                                        ; implicit-def: $vgpr3_vgpr4
	s_waitcnt lgkmcnt(0)
	v_or_b32_e32 v8, s29, v10
	v_cmp_ne_u64_e32 vcc, 0, v[7:8]
	s_and_saveexec_b64 s[0:1], vcc
	s_xor_b64 s[30:31], exec, s[0:1]
	s_cbranch_execz .LBB0_4
; %bb.3:                                ;   in Loop: Header=BB0_2 Depth=1
	v_cvt_f32_u32_e32 v3, s28
	v_cvt_f32_u32_e32 v4, s29
	s_sub_u32 s0, 0, s28
	s_subb_u32 s1, 0, s29
	v_mac_f32_e32 v3, 0x4f800000, v4
	v_rcp_f32_e32 v3, v3
	v_mul_f32_e32 v3, 0x5f7ffffc, v3
	v_mul_f32_e32 v4, 0x2f800000, v3
	v_trunc_f32_e32 v4, v4
	v_mac_f32_e32 v3, 0xcf800000, v4
	v_cvt_u32_f32_e32 v4, v4
	v_cvt_u32_f32_e32 v3, v3
	v_mul_lo_u32 v8, s0, v4
	v_mul_hi_u32 v11, s0, v3
	v_mul_lo_u32 v13, s1, v3
	v_mul_lo_u32 v12, s0, v3
	v_add_u32_e32 v8, v11, v8
	v_add_u32_e32 v8, v8, v13
	v_mul_hi_u32 v11, v3, v12
	v_mul_lo_u32 v13, v3, v8
	v_mul_hi_u32 v15, v3, v8
	v_mul_hi_u32 v14, v4, v12
	v_mul_lo_u32 v12, v4, v12
	v_mul_hi_u32 v16, v4, v8
	v_add_co_u32_e32 v11, vcc, v11, v13
	v_addc_co_u32_e32 v13, vcc, 0, v15, vcc
	v_mul_lo_u32 v8, v4, v8
	v_add_co_u32_e32 v11, vcc, v11, v12
	v_addc_co_u32_e32 v11, vcc, v13, v14, vcc
	v_addc_co_u32_e32 v12, vcc, 0, v16, vcc
	v_add_co_u32_e32 v8, vcc, v11, v8
	v_addc_co_u32_e32 v11, vcc, 0, v12, vcc
	v_add_co_u32_e32 v3, vcc, v3, v8
	v_addc_co_u32_e32 v4, vcc, v4, v11, vcc
	v_mul_lo_u32 v8, s0, v4
	v_mul_hi_u32 v11, s0, v3
	v_mul_lo_u32 v12, s1, v3
	v_mul_lo_u32 v13, s0, v3
	v_add_u32_e32 v8, v11, v8
	v_add_u32_e32 v8, v8, v12
	v_mul_lo_u32 v14, v3, v8
	v_mul_hi_u32 v15, v3, v13
	v_mul_hi_u32 v16, v3, v8
	;; [unrolled: 1-line block ×3, first 2 shown]
	v_mul_lo_u32 v13, v4, v13
	v_mul_hi_u32 v11, v4, v8
	v_add_co_u32_e32 v14, vcc, v15, v14
	v_addc_co_u32_e32 v15, vcc, 0, v16, vcc
	v_mul_lo_u32 v8, v4, v8
	v_add_co_u32_e32 v13, vcc, v14, v13
	v_addc_co_u32_e32 v12, vcc, v15, v12, vcc
	v_addc_co_u32_e32 v11, vcc, 0, v11, vcc
	v_add_co_u32_e32 v8, vcc, v12, v8
	v_addc_co_u32_e32 v11, vcc, 0, v11, vcc
	v_add_co_u32_e32 v8, vcc, v3, v8
	v_addc_co_u32_e32 v11, vcc, v4, v11, vcc
	v_mad_u64_u32 v[3:4], s[0:1], v9, v11, 0
	v_mul_hi_u32 v12, v9, v8
	v_add_co_u32_e32 v13, vcc, v12, v3
	v_addc_co_u32_e32 v14, vcc, 0, v4, vcc
	v_mad_u64_u32 v[3:4], s[0:1], v10, v8, 0
	v_mad_u64_u32 v[11:12], s[0:1], v10, v11, 0
	v_add_co_u32_e32 v3, vcc, v13, v3
	v_addc_co_u32_e32 v3, vcc, v14, v4, vcc
	v_addc_co_u32_e32 v4, vcc, 0, v12, vcc
	v_add_co_u32_e32 v8, vcc, v3, v11
	v_addc_co_u32_e32 v11, vcc, 0, v4, vcc
	v_mul_lo_u32 v12, s29, v8
	v_mul_lo_u32 v13, s28, v11
	v_mad_u64_u32 v[3:4], s[0:1], s28, v8, 0
	v_add3_u32 v4, v4, v13, v12
	v_sub_u32_e32 v12, v10, v4
	v_mov_b32_e32 v13, s29
	v_sub_co_u32_e32 v3, vcc, v9, v3
	v_subb_co_u32_e64 v12, s[0:1], v12, v13, vcc
	v_subrev_co_u32_e64 v13, s[0:1], s28, v3
	v_subbrev_co_u32_e64 v12, s[0:1], 0, v12, s[0:1]
	v_cmp_le_u32_e64 s[0:1], s29, v12
	v_cndmask_b32_e64 v14, 0, -1, s[0:1]
	v_cmp_le_u32_e64 s[0:1], s28, v13
	v_cndmask_b32_e64 v13, 0, -1, s[0:1]
	v_cmp_eq_u32_e64 s[0:1], s29, v12
	v_cndmask_b32_e64 v12, v14, v13, s[0:1]
	v_add_co_u32_e64 v13, s[0:1], 2, v8
	v_addc_co_u32_e64 v14, s[0:1], 0, v11, s[0:1]
	v_add_co_u32_e64 v15, s[0:1], 1, v8
	v_addc_co_u32_e64 v16, s[0:1], 0, v11, s[0:1]
	v_subb_co_u32_e32 v4, vcc, v10, v4, vcc
	v_cmp_ne_u32_e64 s[0:1], 0, v12
	v_cmp_le_u32_e32 vcc, s29, v4
	v_cndmask_b32_e64 v12, v16, v14, s[0:1]
	v_cndmask_b32_e64 v14, 0, -1, vcc
	v_cmp_le_u32_e32 vcc, s28, v3
	v_cndmask_b32_e64 v3, 0, -1, vcc
	v_cmp_eq_u32_e32 vcc, s29, v4
	v_cndmask_b32_e32 v3, v14, v3, vcc
	v_cmp_ne_u32_e32 vcc, 0, v3
	v_cndmask_b32_e64 v3, v15, v13, s[0:1]
	v_cndmask_b32_e32 v4, v11, v12, vcc
	v_cndmask_b32_e32 v3, v8, v3, vcc
.LBB0_4:                                ;   in Loop: Header=BB0_2 Depth=1
	s_andn2_saveexec_b64 s[0:1], s[30:31]
	s_cbranch_execz .LBB0_6
; %bb.5:                                ;   in Loop: Header=BB0_2 Depth=1
	v_cvt_f32_u32_e32 v3, s28
	s_sub_i32 s30, 0, s28
	v_rcp_iflag_f32_e32 v3, v3
	v_mul_f32_e32 v3, 0x4f7ffffe, v3
	v_cvt_u32_f32_e32 v3, v3
	v_mul_lo_u32 v4, s30, v3
	v_mul_hi_u32 v4, v3, v4
	v_add_u32_e32 v3, v3, v4
	v_mul_hi_u32 v3, v9, v3
	v_mul_lo_u32 v4, v3, s28
	v_add_u32_e32 v8, 1, v3
	v_sub_u32_e32 v4, v9, v4
	v_subrev_u32_e32 v11, s28, v4
	v_cmp_le_u32_e32 vcc, s28, v4
	v_cndmask_b32_e32 v4, v4, v11, vcc
	v_cndmask_b32_e32 v3, v3, v8, vcc
	v_add_u32_e32 v8, 1, v3
	v_cmp_le_u32_e32 vcc, s28, v4
	v_cndmask_b32_e32 v3, v3, v8, vcc
	v_mov_b32_e32 v4, v7
.LBB0_6:                                ;   in Loop: Header=BB0_2 Depth=1
	s_or_b64 exec, exec, s[0:1]
	v_mul_lo_u32 v8, v4, s28
	v_mul_lo_u32 v13, v3, s29
	v_mad_u64_u32 v[11:12], s[0:1], v3, s28, 0
	s_load_dwordx2 s[0:1], s[22:23], 0x0
	s_load_dwordx2 s[28:29], s[6:7], 0x0
	v_add3_u32 v8, v12, v13, v8
	v_sub_co_u32_e32 v9, vcc, v9, v11
	v_subb_co_u32_e32 v8, vcc, v10, v8, vcc
	s_waitcnt lgkmcnt(0)
	v_mul_lo_u32 v10, s0, v8
	v_mul_lo_u32 v11, s1, v9
	v_mad_u64_u32 v[5:6], s[0:1], s0, v9, v[5:6]
	v_mul_lo_u32 v8, s28, v8
	v_mul_lo_u32 v12, s29, v9
	v_mad_u64_u32 v[1:2], s[0:1], s28, v9, v[1:2]
	s_add_u32 s26, s26, 1
	s_addc_u32 s27, s27, 0
	s_add_u32 s6, s6, 8
	v_add3_u32 v2, v12, v2, v8
	s_addc_u32 s7, s7, 0
	v_mov_b32_e32 v8, s14
	s_add_u32 s22, s22, 8
	v_mov_b32_e32 v9, s15
	s_addc_u32 s23, s23, 0
	v_cmp_ge_u64_e32 vcc, s[26:27], v[8:9]
	s_add_u32 s24, s24, 8
	v_add3_u32 v6, v11, v6, v10
	s_addc_u32 s25, s25, 0
	s_cbranch_vccnz .LBB0_9
; %bb.7:                                ;   in Loop: Header=BB0_2 Depth=1
	v_mov_b32_e32 v10, v4
	v_mov_b32_e32 v9, v3
	s_branch .LBB0_2
.LBB0_8:
	v_mov_b32_e32 v1, v5
	v_mov_b32_e32 v3, v9
	;; [unrolled: 1-line block ×4, first 2 shown]
.LBB0_9:
	s_load_dwordx2 s[0:1], s[4:5], 0x28
	s_lshl_b64 s[14:15], s[14:15], 3
	s_add_u32 s4, s18, s14
	s_addc_u32 s5, s19, s15
                                        ; implicit-def: $sgpr18
                                        ; implicit-def: $vgpr26
                                        ; implicit-def: $vgpr23
                                        ; implicit-def: $vgpr24
	s_waitcnt lgkmcnt(0)
	v_cmp_gt_u64_e32 vcc, s[0:1], v[3:4]
	v_cmp_le_u64_e64 s[0:1], s[0:1], v[3:4]
	s_and_saveexec_b64 s[6:7], s[0:1]
	s_xor_b64 s[0:1], exec, s[6:7]
; %bb.10:
	s_mov_b32 s6, 0x1745d18
	v_mul_hi_u32 v5, v0, s6
	s_mov_b32 s18, 0
	v_mul_u32_u24_e32 v5, 0xb0, v5
	v_sub_u32_e32 v26, v0, v5
	v_add_u32_e32 v23, 0xb0, v26
	v_add_u32_e32 v24, 0x160, v26
                                        ; implicit-def: $vgpr0
                                        ; implicit-def: $vgpr5_vgpr6
; %bb.11:
	s_or_saveexec_b64 s[6:7], s[0:1]
	s_load_dwordx2 s[4:5], s[4:5], 0x0
	v_mov_b32_e32 v25, s18
                                        ; implicit-def: $vgpr7
                                        ; implicit-def: $vgpr11
                                        ; implicit-def: $vgpr9
                                        ; implicit-def: $vgpr15
                                        ; implicit-def: $vgpr13
                                        ; implicit-def: $vgpr17
                                        ; implicit-def: $vgpr20
                                        ; implicit-def: $vgpr22
	s_xor_b64 exec, exec, s[6:7]
	s_cbranch_execz .LBB0_15
; %bb.12:
	s_add_u32 s0, s16, s14
	s_mov_b32 s14, 0x1745d18
	v_mul_hi_u32 v7, v0, s14
	s_addc_u32 s1, s17, s15
	s_load_dwordx2 s[0:1], s[0:1], 0x0
	v_lshlrev_b64 v[5:6], 3, v[5:6]
	v_mul_u32_u24_e32 v7, 0xb0, v7
	v_sub_u32_e32 v26, v0, v7
	v_mad_u64_u32 v[7:8], s[14:15], s2, v26, 0
	s_waitcnt lgkmcnt(0)
	v_mul_lo_u32 v13, s1, v3
	v_mul_lo_u32 v14, s0, v4
	v_mad_u64_u32 v[9:10], s[0:1], s0, v3, 0
	v_mov_b32_e32 v0, v8
	v_mad_u64_u32 v[11:12], s[0:1], s3, v26, v[0:1]
	v_add3_u32 v10, v10, v14, v13
	v_lshlrev_b64 v[9:10], 3, v[9:10]
	v_mov_b32_e32 v8, v11
	v_mov_b32_e32 v0, s9
	v_add_co_u32_e64 v11, s[0:1], s8, v9
	v_add_u32_e32 v13, 0x268, v26
	v_addc_co_u32_e64 v12, s[0:1], v0, v10, s[0:1]
	v_mad_u64_u32 v[9:10], s[0:1], s2, v13, 0
	v_add_co_u32_e64 v0, s[0:1], v11, v5
	v_addc_co_u32_e64 v5, s[0:1], v12, v6, s[0:1]
	v_lshlrev_b64 v[6:7], 3, v[7:8]
	v_mov_b32_e32 v8, v10
	v_mad_u64_u32 v[10:11], s[0:1], s3, v13, v[8:9]
	v_add_u32_e32 v23, 0xb0, v26
	v_mad_u64_u32 v[11:12], s[0:1], s2, v23, 0
	v_add_co_u32_e64 v18, s[0:1], v0, v6
	v_mov_b32_e32 v8, v12
	v_addc_co_u32_e64 v19, s[0:1], v5, v7, s[0:1]
	v_lshlrev_b64 v[6:7], 3, v[9:10]
	v_mad_u64_u32 v[8:9], s[0:1], s3, v23, v[8:9]
	v_add_u32_e32 v13, 0x318, v26
	v_mad_u64_u32 v[9:10], s[0:1], s2, v13, 0
	v_add_co_u32_e64 v20, s[0:1], v0, v6
	v_mov_b32_e32 v12, v8
	v_mov_b32_e32 v8, v10
	v_addc_co_u32_e64 v21, s[0:1], v5, v7, s[0:1]
	v_lshlrev_b64 v[6:7], 3, v[11:12]
	v_mad_u64_u32 v[10:11], s[0:1], s3, v13, v[8:9]
	v_add_u32_e32 v24, 0x160, v26
	v_mad_u64_u32 v[11:12], s[0:1], s2, v24, 0
	v_add_co_u32_e64 v27, s[0:1], v0, v6
	v_mov_b32_e32 v8, v12
	v_addc_co_u32_e64 v28, s[0:1], v5, v7, s[0:1]
	v_lshlrev_b64 v[6:7], 3, v[9:10]
	v_mad_u64_u32 v[8:9], s[0:1], s3, v24, v[8:9]
	v_add_u32_e32 v13, 0x3c8, v26
	v_mad_u64_u32 v[9:10], s[0:1], s2, v13, 0
	v_add_co_u32_e64 v29, s[0:1], v0, v6
	v_mov_b32_e32 v12, v8
	v_mov_b32_e32 v8, v10
	v_addc_co_u32_e64 v30, s[0:1], v5, v7, s[0:1]
	v_lshlrev_b64 v[6:7], 3, v[11:12]
	v_mad_u64_u32 v[10:11], s[0:1], s3, v13, v[8:9]
	v_add_co_u32_e64 v31, s[0:1], v0, v6
	v_addc_co_u32_e64 v32, s[0:1], v5, v7, s[0:1]
	v_lshlrev_b64 v[6:7], 3, v[9:10]
	v_add_co_u32_e64 v33, s[0:1], v0, v6
	v_addc_co_u32_e64 v34, s[0:1], v5, v7, s[0:1]
	global_load_dwordx2 v[6:7], v[18:19], off
	global_load_dwordx2 v[10:11], v[20:21], off
	;; [unrolled: 1-line block ×6, first 2 shown]
	s_movk_i32 s0, 0x58
	v_cmp_gt_u32_e64 s[0:1], s0, v26
                                        ; implicit-def: $vgpr21
                                        ; implicit-def: $vgpr19
	s_and_saveexec_b64 s[8:9], s[0:1]
	s_cbranch_execz .LBB0_14
; %bb.13:
	v_add_u32_e32 v22, 0x210, v26
	v_add_u32_e32 v25, 0x478, v26
	v_mad_u64_u32 v[18:19], s[0:1], s2, v22, 0
	v_mad_u64_u32 v[20:21], s[0:1], s2, v25, 0
	;; [unrolled: 1-line block ×4, first 2 shown]
	v_mov_b32_e32 v19, v27
	v_lshlrev_b64 v[18:19], 3, v[18:19]
	v_add_co_u32_e64 v27, s[0:1], v0, v18
	v_addc_co_u32_e64 v28, s[0:1], v5, v19, s[0:1]
	v_lshlrev_b64 v[18:19], 3, v[20:21]
	v_add_co_u32_e64 v29, s[0:1], v0, v18
	v_addc_co_u32_e64 v30, s[0:1], v5, v19, s[0:1]
	global_load_dwordx2 v[19:20], v[27:28], off
	global_load_dwordx2 v[21:22], v[29:30], off
.LBB0_14:
	s_or_b64 exec, exec, s[8:9]
	v_mov_b32_e32 v25, v26
.LBB0_15:
	s_or_b64 exec, exec, s[6:7]
	s_waitcnt vmcnt(4)
	v_sub_f32_e32 v28, v6, v10
	v_fma_f32 v27, v6, 2.0, -v28
	s_waitcnt vmcnt(2)
	v_sub_f32_e32 v30, v8, v14
	s_waitcnt vmcnt(0)
	v_sub_f32_e32 v32, v12, v16
	v_sub_f32_e32 v6, v19, v21
	v_add_u32_e32 v10, 0x210, v26
	s_movk_i32 s0, 0x58
	v_fma_f32 v29, v8, 2.0, -v30
	v_fma_f32 v31, v12, 2.0, -v32
	;; [unrolled: 1-line block ×3, first 2 shown]
	v_lshl_add_u32 v12, v26, 3, 0
	v_lshl_add_u32 v14, v23, 3, 0
	;; [unrolled: 1-line block ×3, first 2 shown]
	v_cmp_gt_u32_e64 s[0:1], s0, v26
	v_lshl_add_u32 v21, v10, 3, 0
	ds_write_b64 v12, v[27:28]
	ds_write_b64 v14, v[29:30]
	;; [unrolled: 1-line block ×3, first 2 shown]
	s_and_saveexec_b64 s[2:3], s[0:1]
	s_cbranch_execz .LBB0_17
; %bb.16:
	ds_write_b64 v21, v[5:6]
.LBB0_17:
	s_or_b64 exec, exec, s[2:3]
	v_lshlrev_b32_e32 v0, 2, v26
	v_sub_u32_e32 v28, v12, v0
	v_add_u32_e32 v8, 0x900, v28
	s_waitcnt lgkmcnt(0)
	s_barrier
	ds_read2_b32 v[18:19], v8 offset0:40 offset1:216
	v_lshlrev_b32_e32 v8, 2, v23
	v_lshlrev_b32_e32 v27, 2, v24
	v_sub_u32_e32 v29, v14, v8
	v_sub_u32_e32 v31, v16, v27
	ds_read_b32 v30, v28
	ds_read_b32 v31, v31
	;; [unrolled: 1-line block ×3, first 2 shown]
	ds_read_b32 v29, v28 offset:3872
	v_sub_u32_e32 v0, 0, v0
	v_add_u32_e32 v0, v12, v0
	s_and_saveexec_b64 s[2:3], s[0:1]
	s_cbranch_execz .LBB0_19
; %bb.18:
	ds_read_b32 v5, v0 offset:2112
	ds_read_b32 v6, v0 offset:4576
.LBB0_19:
	s_or_b64 exec, exec, s[2:3]
	v_sub_u32_e32 v28, 0, v8
	v_sub_f32_e32 v34, v7, v11
	v_sub_f32_e32 v8, v20, v22
	v_sub_u32_e32 v27, 0, v27
	v_fma_f32 v33, v7, 2.0, -v34
	v_sub_f32_e32 v36, v9, v15
	v_sub_f32_e32 v38, v13, v17
	v_fma_f32 v7, v20, 2.0, -v8
	v_fma_f32 v35, v9, 2.0, -v36
	v_fma_f32 v37, v13, 2.0, -v38
	s_waitcnt lgkmcnt(0)
	s_barrier
	ds_write_b64 v12, v[33:34]
	ds_write_b64 v14, v[35:36]
	;; [unrolled: 1-line block ×3, first 2 shown]
	s_and_saveexec_b64 s[2:3], s[0:1]
	s_cbranch_execz .LBB0_21
; %bb.20:
	ds_write_b64 v21, v[7:8]
.LBB0_21:
	s_or_b64 exec, exec, s[2:3]
	v_add_u32_e32 v9, 0x900, v0
	v_add_u32_e32 v28, v14, v28
	s_waitcnt lgkmcnt(0)
	s_barrier
	ds_read2_b32 v[11:12], v9 offset0:40 offset1:216
	ds_read_b32 v22, v28
	v_add_u32_e32 v27, v16, v27
	ds_read_b32 v36, v0 offset:3872
	ds_read_b32 v34, v0
	ds_read_b32 v33, v27
	v_lshlrev_b32_e32 v15, 1, v26
	v_lshlrev_b32_e32 v16, 1, v23
	;; [unrolled: 1-line block ×3, first 2 shown]
	s_and_saveexec_b64 s[2:3], s[0:1]
	s_cbranch_execz .LBB0_23
; %bb.22:
	ds_read_b32 v7, v0 offset:2112
	ds_read_b32 v8, v0 offset:4576
.LBB0_23:
	s_or_b64 exec, exec, s[2:3]
	v_and_b32_e32 v35, 1, v26
	v_lshlrev_b32_e32 v9, 3, v35
	global_load_dwordx2 v[13:14], v9, s[12:13]
	s_movk_i32 s2, 0x1fc
	s_movk_i32 s3, 0x3fc
	;; [unrolled: 1-line block ×3, first 2 shown]
	v_and_or_b32 v9, v15, s2, v35
	v_and_or_b32 v17, v16, s3, v35
	;; [unrolled: 1-line block ×3, first 2 shown]
	v_lshl_add_u32 v37, v9, 2, 0
	v_lshl_add_u32 v38, v17, 2, 0
	;; [unrolled: 1-line block ×3, first 2 shown]
	s_waitcnt vmcnt(0) lgkmcnt(0)
	s_barrier
	v_mul_f32_e32 v9, v11, v14
	v_mul_f32_e32 v17, v12, v14
	;; [unrolled: 1-line block ×4, first 2 shown]
	v_fmac_f32_e32 v9, v18, v13
	v_fmac_f32_e32 v17, v19, v13
	v_fmac_f32_e32 v20, v29, v13
	v_fmac_f32_e32 v23, v6, v13
	v_sub_f32_e32 v9, v30, v9
	v_sub_f32_e32 v40, v32, v17
	;; [unrolled: 1-line block ×4, first 2 shown]
	v_fma_f32 v23, v30, 2.0, -v9
	v_fma_f32 v30, v32, 2.0, -v40
	v_fma_f32 v31, v31, 2.0, -v20
	v_fma_f32 v24, v5, 2.0, -v17
	ds_write2_b32 v37, v23, v9 offset1:2
	ds_write2_b32 v38, v30, v40 offset1:2
	;; [unrolled: 1-line block ×3, first 2 shown]
	v_lshlrev_b32_e32 v23, 1, v10
	s_and_saveexec_b64 s[2:3], s[0:1]
	s_cbranch_execz .LBB0_25
; %bb.24:
	s_movk_i32 s6, 0x5fc
	v_and_or_b32 v5, v23, s6, v35
	v_lshl_add_u32 v5, v5, 2, 0
	ds_write2_b32 v5, v24, v17 offset1:2
.LBB0_25:
	s_or_b64 exec, exec, s[2:3]
	v_add_u32_e32 v5, 0x900, v0
	s_waitcnt lgkmcnt(0)
	s_barrier
	ds_read2_b32 v[9:10], v5 offset0:40 offset1:216
	ds_read_b32 v30, v28
	ds_read_b32 v20, v0 offset:3872
	ds_read_b32 v32, v0
	ds_read_b32 v31, v27
	s_and_saveexec_b64 s[2:3], s[0:1]
	s_cbranch_execz .LBB0_27
; %bb.26:
	ds_read_b32 v24, v0 offset:2112
	ds_read_b32 v17, v0 offset:4576
.LBB0_27:
	s_or_b64 exec, exec, s[2:3]
	v_mul_f32_e32 v5, v18, v14
	v_fma_f32 v5, v11, v13, -v5
	v_mul_f32_e32 v11, v19, v14
	v_mul_f32_e32 v6, v6, v14
	v_fma_f32 v11, v12, v13, -v11
	v_mul_f32_e32 v12, v29, v14
	v_fma_f32 v6, v8, v13, -v6
	v_fma_f32 v12, v36, v13, -v12
	v_sub_f32_e32 v5, v34, v5
	v_sub_f32_e32 v14, v7, v6
	v_fma_f32 v8, v34, 2.0, -v5
	v_sub_f32_e32 v11, v22, v11
	v_sub_f32_e32 v12, v33, v12
	v_fma_f32 v13, v7, 2.0, -v14
	v_fma_f32 v18, v22, 2.0, -v11
	;; [unrolled: 1-line block ×3, first 2 shown]
	s_waitcnt lgkmcnt(0)
	s_barrier
	ds_write2_b32 v37, v8, v5 offset1:2
	ds_write2_b32 v38, v18, v11 offset1:2
	;; [unrolled: 1-line block ×3, first 2 shown]
	s_and_saveexec_b64 s[2:3], s[0:1]
	s_cbranch_execz .LBB0_29
; %bb.28:
	s_movk_i32 s6, 0x5fc
	v_and_or_b32 v5, v23, s6, v35
	v_lshl_add_u32 v5, v5, 2, 0
	ds_write2_b32 v5, v13, v14 offset1:2
.LBB0_29:
	s_or_b64 exec, exec, s[2:3]
	v_add_u32_e32 v5, 0x900, v0
	s_waitcnt lgkmcnt(0)
	s_barrier
	ds_read2_b32 v[5:6], v5 offset0:40 offset1:216
	ds_read_b32 v18, v28
	ds_read_b32 v35, v0 offset:3872
	ds_read_b32 v34, v0
	ds_read_b32 v19, v27
	s_and_saveexec_b64 s[2:3], s[0:1]
	s_cbranch_execz .LBB0_31
; %bb.30:
	ds_read_b32 v13, v0 offset:2112
	ds_read_b32 v14, v0 offset:4576
.LBB0_31:
	s_or_b64 exec, exec, s[2:3]
	v_and_b32_e32 v33, 3, v26
	v_lshlrev_b32_e32 v7, 3, v33
	global_load_dwordx2 v[11:12], v7, s[12:13] offset:16
	s_movk_i32 s2, 0x1f8
	s_movk_i32 s6, 0x7f8
	;; [unrolled: 1-line block ×3, first 2 shown]
	v_and_or_b32 v7, v15, s2, v33
	v_and_or_b32 v22, v21, s6, v33
	v_and_or_b32 v8, v16, s3, v33
	v_lshl_add_u32 v36, v7, 2, 0
	v_lshl_add_u32 v42, v22, 2, 0
	;; [unrolled: 1-line block ×3, first 2 shown]
	s_waitcnt vmcnt(0) lgkmcnt(0)
	s_barrier
	v_mul_f32_e32 v7, v5, v12
	v_mul_f32_e32 v22, v35, v12
	;; [unrolled: 1-line block ×4, first 2 shown]
	v_fmac_f32_e32 v7, v9, v11
	v_fmac_f32_e32 v22, v20, v11
	;; [unrolled: 1-line block ×4, first 2 shown]
	v_sub_f32_e32 v7, v32, v7
	v_sub_f32_e32 v38, v31, v22
	;; [unrolled: 1-line block ×4, first 2 shown]
	v_fma_f32 v29, v32, 2.0, -v7
	v_fma_f32 v37, v24, 2.0, -v22
	;; [unrolled: 1-line block ×4, first 2 shown]
	ds_write2_b32 v36, v29, v7 offset1:4
	ds_write2_b32 v41, v30, v8 offset1:4
	;; [unrolled: 1-line block ×3, first 2 shown]
	s_and_saveexec_b64 s[2:3], s[0:1]
	s_cbranch_execz .LBB0_33
; %bb.32:
	s_movk_i32 s6, 0x5f8
	v_and_or_b32 v7, v23, s6, v33
	v_lshl_add_u32 v7, v7, 2, 0
	ds_write2_b32 v7, v37, v22 offset1:4
.LBB0_33:
	s_or_b64 exec, exec, s[2:3]
	v_add_u32_e32 v7, 0x900, v0
	s_waitcnt lgkmcnt(0)
	s_barrier
	ds_read2_b32 v[7:8], v7 offset0:40 offset1:216
	ds_read_b32 v38, v28
	ds_read_b32 v24, v0 offset:3872
	ds_read_b32 v40, v0
	ds_read_b32 v39, v27
	v_lshl_add_u32 v29, v26, 2, 0
	s_and_saveexec_b64 s[2:3], s[0:1]
	s_cbranch_execz .LBB0_35
; %bb.34:
	ds_read_b32 v37, v29 offset:2112
	ds_read_b32 v22, v0 offset:4576
.LBB0_35:
	s_or_b64 exec, exec, s[2:3]
	v_mul_f32_e32 v9, v9, v12
	v_fma_f32 v5, v5, v11, -v9
	v_mul_f32_e32 v9, v10, v12
	v_mul_f32_e32 v10, v17, v12
	v_fma_f32 v6, v6, v11, -v9
	v_mul_f32_e32 v9, v20, v12
	v_fma_f32 v10, v14, v11, -v10
	v_fma_f32 v9, v35, v11, -v9
	v_sub_f32_e32 v5, v34, v5
	v_sub_f32_e32 v31, v13, v10
	v_fma_f32 v11, v34, 2.0, -v5
	v_sub_f32_e32 v6, v18, v6
	v_sub_f32_e32 v9, v19, v9
	v_fma_f32 v30, v13, 2.0, -v31
	v_fma_f32 v12, v18, 2.0, -v6
	;; [unrolled: 1-line block ×3, first 2 shown]
	s_waitcnt lgkmcnt(0)
	s_barrier
	ds_write2_b32 v36, v11, v5 offset1:4
	ds_write2_b32 v41, v12, v6 offset1:4
	;; [unrolled: 1-line block ×3, first 2 shown]
	s_and_saveexec_b64 s[2:3], s[0:1]
	s_cbranch_execz .LBB0_37
; %bb.36:
	s_movk_i32 s6, 0x5f8
	v_and_or_b32 v5, v23, s6, v33
	v_lshl_add_u32 v5, v5, 2, 0
	ds_write2_b32 v5, v30, v31 offset1:4
.LBB0_37:
	s_or_b64 exec, exec, s[2:3]
	v_add_u32_e32 v5, 0x900, v0
	s_waitcnt lgkmcnt(0)
	s_barrier
	ds_read2_b32 v[17:18], v5 offset0:40 offset1:216
	ds_read_b32 v32, v28
	ds_read_b32 v36, v0 offset:3872
	ds_read_b32 v35, v0
	ds_read_b32 v33, v27
	s_and_saveexec_b64 s[2:3], s[0:1]
	s_cbranch_execz .LBB0_39
; %bb.38:
	ds_read_b32 v30, v29 offset:2112
	ds_read_b32 v31, v0 offset:4576
.LBB0_39:
	s_or_b64 exec, exec, s[2:3]
	v_and_b32_e32 v34, 7, v26
	v_lshlrev_b32_e32 v5, 3, v34
	global_load_dwordx2 v[19:20], v5, s[12:13] offset:48
	s_movk_i32 s2, 0x1f0
	s_movk_i32 s6, 0x7f0
	v_and_or_b32 v5, v15, s2, v34
	v_and_or_b32 v9, v21, s6, v34
	s_movk_i32 s3, 0x3f0
	v_lshl_add_u32 v41, v5, 2, 0
	v_lshl_add_u32 v43, v9, 2, 0
	v_and_or_b32 v6, v16, s3, v34
	v_lshl_add_u32 v42, v6, 2, 0
	s_waitcnt vmcnt(0) lgkmcnt(0)
	s_barrier
	v_mul_f32_e32 v5, v17, v20
	v_mul_f32_e32 v9, v18, v20
	;; [unrolled: 1-line block ×4, first 2 shown]
	v_fmac_f32_e32 v5, v7, v19
	v_fmac_f32_e32 v9, v8, v19
	;; [unrolled: 1-line block ×4, first 2 shown]
	v_sub_f32_e32 v6, v40, v5
	v_sub_f32_e32 v10, v38, v9
	;; [unrolled: 1-line block ×4, first 2 shown]
	v_fma_f32 v5, v40, 2.0, -v6
	v_fma_f32 v9, v38, 2.0, -v10
	;; [unrolled: 1-line block ×4, first 2 shown]
	ds_write2_b32 v41, v5, v6 offset1:8
	ds_write2_b32 v42, v9, v10 offset1:8
	;; [unrolled: 1-line block ×3, first 2 shown]
	s_and_saveexec_b64 s[2:3], s[0:1]
	s_cbranch_execz .LBB0_41
; %bb.40:
	s_movk_i32 s6, 0x5f0
	v_and_or_b32 v15, v23, s6, v34
	v_lshl_add_u32 v15, v15, 2, 0
	ds_write2_b32 v15, v13, v14 offset1:8
.LBB0_41:
	s_or_b64 exec, exec, s[2:3]
	s_movk_i32 s2, 0x70
	v_cmp_gt_u32_e64 s[2:3], s2, v26
	s_waitcnt lgkmcnt(0)
	s_barrier
	s_waitcnt lgkmcnt(0)
                                        ; implicit-def: $vgpr16
                                        ; implicit-def: $vgpr39
	s_and_saveexec_b64 s[6:7], s[2:3]
	s_cbranch_execz .LBB0_43
; %bb.42:
	v_add_u32_e32 v9, 0x200, v0
	v_add_u32_e32 v11, 0x600, v0
	;; [unrolled: 1-line block ×4, first 2 shown]
	ds_read2_b32 v[5:6], v0 offset1:112
	ds_read2_b32 v[9:10], v9 offset0:96 offset1:208
	ds_read2_b32 v[11:12], v11 offset0:64 offset1:176
	ds_read2_b32 v[13:14], v13 offset0:32 offset1:144
	ds_read_b32 v39, v29 offset:3584
	ds_read2_b32 v[15:16], v15 offset0:112 offset1:224
.LBB0_43:
	s_or_b64 exec, exec, s[6:7]
	v_mul_f32_e32 v7, v7, v20
	v_mul_f32_e32 v8, v8, v20
	v_fma_f32 v7, v17, v19, -v7
	v_fma_f32 v17, v18, v19, -v8
	v_mul_f32_e32 v8, v24, v20
	v_fma_f32 v21, v36, v19, -v8
	v_mul_f32_e32 v8, v22, v20
	v_fma_f32 v22, v31, v19, -v8
	v_sub_f32_e32 v8, v35, v7
	v_sub_f32_e32 v18, v32, v17
	;; [unrolled: 1-line block ×4, first 2 shown]
	v_fma_f32 v7, v35, 2.0, -v8
	v_fma_f32 v17, v32, 2.0, -v18
	;; [unrolled: 1-line block ×4, first 2 shown]
	s_waitcnt lgkmcnt(0)
	s_barrier
	ds_write2_b32 v41, v7, v8 offset1:8
	ds_write2_b32 v42, v17, v18 offset1:8
	;; [unrolled: 1-line block ×3, first 2 shown]
	s_and_saveexec_b64 s[6:7], s[0:1]
	s_cbranch_execz .LBB0_45
; %bb.44:
	s_movk_i32 s0, 0x5f0
	v_and_or_b32 v23, v23, s0, v34
	v_lshl_add_u32 v23, v23, 2, 0
	ds_write2_b32 v23, v21, v22 offset1:8
.LBB0_45:
	s_or_b64 exec, exec, s[6:7]
	s_waitcnt lgkmcnt(0)
	s_barrier
	s_waitcnt lgkmcnt(0)
                                        ; implicit-def: $vgpr24
                                        ; implicit-def: $vgpr42
	s_and_saveexec_b64 s[0:1], s[2:3]
	s_cbranch_execz .LBB0_47
; %bb.46:
	v_add_u32_e32 v17, 0x200, v0
	v_add_u32_e32 v19, 0x600, v0
	v_add_u32_e32 v21, 0xa00, v0
	v_add_u32_e32 v23, 0xe00, v0
	ds_read2_b32 v[7:8], v0 offset1:112
	ds_read2_b32 v[17:18], v17 offset0:96 offset1:208
	ds_read2_b32 v[19:20], v19 offset0:64 offset1:176
	;; [unrolled: 1-line block ×3, first 2 shown]
	ds_read_b32 v42, v29 offset:3584
	ds_read2_b32 v[23:24], v23 offset0:112 offset1:224
.LBB0_47:
	s_or_b64 exec, exec, s[0:1]
	v_and_b32_e32 v30, 15, v26
	v_mul_u32_u24_e32 v31, 10, v30
	v_lshlrev_b32_e32 v31, 3, v31
	global_load_dwordx4 v[43:46], v31, s[12:13] offset:128
	global_load_dwordx4 v[47:50], v31, s[12:13] offset:144
	global_load_dwordx4 v[51:54], v31, s[12:13] offset:160
	global_load_dwordx4 v[55:58], v31, s[12:13] offset:112
	global_load_dwordx4 v[59:62], v31, s[12:13] offset:176
	s_waitcnt vmcnt(0) lgkmcnt(0)
	s_barrier
	v_mul_f32_e32 v35, v18, v44
	v_mul_f32_e32 v37, v10, v44
	;; [unrolled: 1-line block ×16, first 2 shown]
	v_fmac_f32_e32 v35, v10, v43
	v_fma_f32 v37, v18, v43, -v37
	v_fma_f32 v18, v19, v45, -v41
	v_mul_f32_e32 v19, v23, v60
	v_mul_f32_e32 v10, v15, v60
	;; [unrolled: 1-line block ×4, first 2 shown]
	v_fmac_f32_e32 v33, v11, v45
	v_fmac_f32_e32 v31, v12, v47
	v_fma_f32 v11, v20, v47, -v44
	v_fmac_f32_e32 v32, v13, v49
	v_fma_f32 v12, v21, v49, -v46
	;; [unrolled: 2-line block ×8, first 2 shown]
	v_lshrrev_b32_e32 v10, 4, v26
	s_and_saveexec_b64 s[0:1], s[2:3]
	s_cbranch_execz .LBB0_49
; %bb.48:
	v_sub_f32_e32 v8, v22, v23
	v_add_f32_e32 v6, v40, v41
	v_mul_f32_e32 v9, 0xbe903f40, v8
	s_mov_b32 s6, 0xbf75a155
	v_sub_f32_e32 v17, v20, v21
	v_fma_f32 v15, v6, s6, -v9
	v_add_f32_e32 v16, v38, v19
	v_mul_f32_e32 v24, 0x3f0a6770, v17
	s_mov_b32 s7, 0x3f575c64
	v_add_f32_e32 v15, v5, v15
	v_fma_f32 v39, v16, s7, -v24
	v_sub_f32_e32 v42, v37, v14
	v_add_f32_e32 v15, v39, v15
	v_add_f32_e32 v39, v35, v36
	v_mul_f32_e32 v43, 0xbf4178ce, v42
	s_mov_b32 s8, 0xbf27a4f4
	v_fma_f32 v44, v39, s8, -v43
	v_sub_f32_e32 v45, v18, v13
	v_fmac_f32_e32 v9, 0xbf75a155, v6
	v_add_f32_e32 v15, v44, v15
	v_add_f32_e32 v44, v33, v34
	v_mul_f32_e32 v46, 0x3f68dda4, v45
	s_mov_b32 s9, 0x3ed4b147
	v_add_f32_e32 v9, v5, v9
	v_fmac_f32_e32 v24, 0x3f575c64, v16
	v_fma_f32 v47, v44, s9, -v46
	v_sub_f32_e32 v48, v11, v12
	v_add_f32_e32 v9, v24, v9
	v_fmac_f32_e32 v43, 0xbf27a4f4, v39
	v_add_f32_e32 v15, v47, v15
	s_mov_b32 s14, 0xbe11bafb
	v_add_f32_e32 v47, v31, v32
	v_mul_f32_e32 v49, 0xbf7d64f0, v48
	v_add_f32_e32 v9, v43, v9
	v_fmac_f32_e32 v46, 0x3ed4b147, v44
	v_mul_f32_e32 v24, 0xbf4178ce, v8
	v_fma_f32 v50, v47, s14, -v49
	v_add_f32_e32 v9, v46, v9
	v_fmac_f32_e32 v49, 0xbe11bafb, v47
	v_fma_f32 v43, v6, s8, -v24
	v_mul_f32_e32 v46, 0x3f7d64f0, v17
	v_add_f32_e32 v9, v49, v9
	v_add_f32_e32 v43, v5, v43
	v_fma_f32 v49, v16, s14, -v46
	v_add_f32_e32 v43, v49, v43
	v_mul_f32_e32 v49, 0xbf0a6770, v42
	v_add_f32_e32 v15, v50, v15
	v_fma_f32 v50, v39, s7, -v49
	v_fmac_f32_e32 v24, 0xbf27a4f4, v6
	v_add_f32_e32 v43, v50, v43
	v_mul_f32_e32 v50, 0xbe903f40, v45
	v_add_f32_e32 v24, v5, v24
	v_fmac_f32_e32 v46, 0xbe11bafb, v16
	v_fma_f32 v51, v44, s6, -v50
	v_add_f32_e32 v24, v46, v24
	v_fmac_f32_e32 v49, 0x3f575c64, v39
	v_add_f32_e32 v43, v51, v43
	v_mul_f32_e32 v51, 0x3f68dda4, v48
	v_add_f32_e32 v24, v49, v24
	v_fmac_f32_e32 v50, 0xbf75a155, v44
	v_mul_f32_e32 v46, 0xbf7d64f0, v8
	v_fma_f32 v52, v47, s9, -v51
	v_add_f32_e32 v24, v50, v24
	v_fmac_f32_e32 v51, 0x3ed4b147, v47
	v_fma_f32 v49, v6, s14, -v46
	v_mul_f32_e32 v50, 0x3e903f40, v17
	v_add_f32_e32 v24, v51, v24
	v_add_f32_e32 v49, v5, v49
	v_fma_f32 v51, v16, s6, -v50
	v_add_f32_e32 v49, v51, v49
	v_mul_f32_e32 v51, 0x3f68dda4, v42
	v_add_f32_e32 v43, v52, v43
	v_fma_f32 v52, v39, s9, -v51
	v_fmac_f32_e32 v46, 0xbe11bafb, v6
	v_add_f32_e32 v49, v52, v49
	v_mul_f32_e32 v52, 0xbf0a6770, v45
	v_add_f32_e32 v46, v5, v46
	v_fmac_f32_e32 v50, 0xbf75a155, v16
	v_fma_f32 v53, v44, s7, -v52
	v_add_f32_e32 v46, v50, v46
	v_fmac_f32_e32 v51, 0x3ed4b147, v39
	v_add_f32_e32 v49, v53, v49
	v_mul_f32_e32 v53, 0xbf4178ce, v48
	v_add_f32_e32 v46, v51, v46
	v_fmac_f32_e32 v52, 0x3f575c64, v44
	v_mul_f32_e32 v50, 0xbf68dda4, v8
	v_fma_f32 v54, v47, s8, -v53
	v_add_f32_e32 v46, v52, v46
	v_fmac_f32_e32 v53, 0xbf27a4f4, v47
	v_fma_f32 v51, v6, s9, -v50
	v_mul_f32_e32 v52, 0xbf4178ce, v17
	v_fmac_f32_e32 v50, 0x3ed4b147, v6
	v_add_f32_e32 v46, v53, v46
	v_fma_f32 v53, v16, s8, -v52
	v_add_f32_e32 v50, v5, v50
	v_fmac_f32_e32 v52, 0xbf27a4f4, v16
	v_mul_f32_e32 v8, 0xbf0a6770, v8
	v_add_f32_e32 v50, v52, v50
	v_fma_f32 v52, v6, s7, -v8
	v_fmac_f32_e32 v8, 0x3f575c64, v6
	v_add_f32_e32 v51, v5, v51
	v_add_f32_e32 v52, v5, v52
	;; [unrolled: 1-line block ×7, first 2 shown]
	v_mul_f32_e32 v53, 0x3e903f40, v42
	v_add_f32_e32 v5, v5, v33
	v_add_f32_e32 v49, v54, v49
	v_fma_f32 v54, v39, s6, -v53
	v_fmac_f32_e32 v53, 0xbf75a155, v39
	v_mul_f32_e32 v17, 0xbf68dda4, v17
	v_add_f32_e32 v5, v5, v31
	v_add_f32_e32 v51, v54, v51
	v_mul_f32_e32 v54, 0x3f7d64f0, v45
	v_add_f32_e32 v50, v53, v50
	v_fma_f32 v53, v16, s9, -v17
	v_mul_f32_e32 v42, 0xbf7d64f0, v42
	v_fmac_f32_e32 v17, 0x3ed4b147, v16
	v_add_f32_e32 v5, v5, v32
	v_fma_f32 v55, v44, s14, -v54
	v_add_f32_e32 v52, v53, v52
	v_fma_f32 v53, v39, s14, -v42
	v_mul_f32_e32 v45, 0xbf4178ce, v45
	v_add_f32_e32 v6, v17, v6
	v_fmac_f32_e32 v42, 0xbe11bafb, v39
	v_add_f32_e32 v5, v5, v34
	v_add_f32_e32 v51, v55, v51
	v_mul_f32_e32 v55, 0x3f0a6770, v48
	v_add_f32_e32 v52, v53, v52
	v_fma_f32 v53, v44, s8, -v45
	v_mul_f32_e32 v48, 0xbe903f40, v48
	v_add_f32_e32 v6, v42, v6
	v_fmac_f32_e32 v45, 0xbf27a4f4, v44
	v_add_f32_e32 v5, v5, v36
	v_mul_u32_u24_e32 v8, 0xb0, v10
	v_fmac_f32_e32 v54, 0xbe11bafb, v44
	v_add_f32_e32 v52, v53, v52
	v_fma_f32 v53, v47, s6, -v48
	v_add_f32_e32 v6, v45, v6
	v_fmac_f32_e32 v48, 0xbf75a155, v47
	v_add_f32_e32 v5, v5, v19
	v_or_b32_e32 v8, v8, v30
	v_fma_f32 v56, v47, s7, -v55
	v_add_f32_e32 v50, v54, v50
	v_fmac_f32_e32 v55, 0x3f575c64, v47
	v_add_f32_e32 v6, v48, v6
	v_add_f32_e32 v5, v5, v41
	v_lshl_add_u32 v8, v8, 2, 0
	v_add_f32_e32 v51, v56, v51
	v_add_f32_e32 v50, v55, v50
	;; [unrolled: 1-line block ×3, first 2 shown]
	ds_write2_b32 v8, v5, v6 offset1:16
	ds_write2_b32 v8, v50, v46 offset0:32 offset1:48
	ds_write2_b32 v8, v24, v9 offset0:64 offset1:80
	;; [unrolled: 1-line block ×4, first 2 shown]
	ds_write_b32 v8, v52 offset:640
.LBB0_49:
	s_or_b64 exec, exec, s[0:1]
	s_waitcnt lgkmcnt(0)
	s_barrier
	ds_read2st64_b32 v[5:6], v0 offset1:11
	ds_read_b32 v17, v28
	ds_read_b32 v15, v27
	ds_read_b32 v16, v29 offset:2112
	v_add_u32_e32 v8, 0xd00, v0
	ds_read2_b32 v[8:9], v8 offset0:48 offset1:224
	s_waitcnt lgkmcnt(0)
	s_barrier
	s_and_saveexec_b64 s[0:1], s[2:3]
	s_cbranch_execz .LBB0_51
; %bb.50:
	v_add_f32_e32 v24, v7, v22
	v_add_f32_e32 v24, v24, v20
	;; [unrolled: 1-line block ×11, first 2 shown]
	v_sub_f32_e32 v23, v40, v41
	v_mul_f32_e32 v39, 0x3f575c64, v22
	v_mul_f32_e32 v41, 0x3ed4b147, v22
	;; [unrolled: 1-line block ×5, first 2 shown]
	v_mov_b32_e32 v40, v39
	v_mov_b32_e32 v42, v41
	;; [unrolled: 1-line block ×5, first 2 shown]
	v_add_f32_e32 v20, v20, v21
	v_fmac_f32_e32 v40, 0x3f0a6770, v23
	v_fmac_f32_e32 v39, 0xbf0a6770, v23
	;; [unrolled: 1-line block ×10, first 2 shown]
	v_sub_f32_e32 v19, v38, v19
	v_mul_f32_e32 v21, 0x3ed4b147, v20
	v_add_f32_e32 v40, v7, v40
	v_add_f32_e32 v39, v7, v39
	;; [unrolled: 1-line block ×10, first 2 shown]
	v_mov_b32_e32 v22, v21
	v_fmac_f32_e32 v21, 0xbf68dda4, v19
	v_mul_f32_e32 v23, 0xbf27a4f4, v20
	v_fmac_f32_e32 v22, 0x3f68dda4, v19
	v_add_f32_e32 v21, v21, v39
	v_mov_b32_e32 v38, v23
	v_fmac_f32_e32 v23, 0xbf4178ce, v19
	v_mul_f32_e32 v39, 0xbf75a155, v20
	v_add_f32_e32 v22, v22, v40
	v_fmac_f32_e32 v38, 0x3f4178ce, v19
	v_add_f32_e32 v23, v23, v41
	v_mov_b32_e32 v40, v39
	v_fmac_f32_e32 v39, 0x3e903f40, v19
	v_mul_f32_e32 v41, 0xbe11bafb, v20
	v_mul_f32_e32 v20, 0x3f575c64, v20
	v_add_f32_e32 v38, v38, v42
	v_add_f32_e32 v39, v39, v43
	v_mov_b32_e32 v42, v41
	v_mov_b32_e32 v43, v20
	v_fmac_f32_e32 v20, 0x3f0a6770, v19
	v_add_f32_e32 v14, v37, v14
	v_fmac_f32_e32 v40, 0xbe903f40, v19
	v_fmac_f32_e32 v42, 0xbf7d64f0, v19
	;; [unrolled: 1-line block ×4, first 2 shown]
	v_add_f32_e32 v7, v20, v7
	v_sub_f32_e32 v19, v35, v36
	v_mul_f32_e32 v20, 0xbe11bafb, v14
	v_mov_b32_e32 v35, v20
	v_fmac_f32_e32 v20, 0xbf7d64f0, v19
	v_fmac_f32_e32 v35, 0x3f7d64f0, v19
	v_add_f32_e32 v20, v20, v21
	v_mul_f32_e32 v21, 0xbf75a155, v14
	v_add_f32_e32 v22, v35, v22
	v_mov_b32_e32 v35, v21
	v_fmac_f32_e32 v21, 0x3e903f40, v19
	v_add_f32_e32 v21, v21, v23
	v_mul_f32_e32 v23, 0x3ed4b147, v14
	v_mov_b32_e32 v36, v23
	v_fmac_f32_e32 v23, 0x3f68dda4, v19
	v_mul_f32_e32 v37, 0x3f575c64, v14
	v_mul_f32_e32 v14, 0xbf27a4f4, v14
	v_fmac_f32_e32 v35, 0xbe903f40, v19
	v_add_f32_e32 v23, v23, v39
	v_mov_b32_e32 v39, v14
	v_fmac_f32_e32 v14, 0xbf4178ce, v19
	v_add_f32_e32 v13, v18, v13
	v_add_f32_e32 v35, v35, v38
	v_mov_b32_e32 v38, v37
	v_add_f32_e32 v7, v14, v7
	v_sub_f32_e32 v14, v33, v34
	v_mul_f32_e32 v18, 0xbf27a4f4, v13
	v_fmac_f32_e32 v36, 0xbf68dda4, v19
	v_fmac_f32_e32 v38, 0x3f0a6770, v19
	v_fmac_f32_e32 v37, 0xbf0a6770, v19
	v_fmac_f32_e32 v39, 0x3f4178ce, v19
	v_mov_b32_e32 v19, v18
	v_fmac_f32_e32 v18, 0xbf4178ce, v14
	v_fmac_f32_e32 v19, 0x3f4178ce, v14
	v_add_f32_e32 v18, v18, v20
	v_mul_f32_e32 v20, 0xbe11bafb, v13
	v_add_f32_e32 v19, v19, v22
	v_mov_b32_e32 v22, v20
	v_fmac_f32_e32 v20, 0x3f7d64f0, v14
	v_add_f32_e32 v20, v20, v21
	v_mul_f32_e32 v21, 0x3f575c64, v13
	v_mov_b32_e32 v33, v21
	v_fmac_f32_e32 v21, 0xbf0a6770, v14
	v_fmac_f32_e32 v22, 0xbf7d64f0, v14
	v_add_f32_e32 v21, v21, v23
	v_mul_f32_e32 v23, 0xbf75a155, v13
	v_mul_f32_e32 v13, 0x3ed4b147, v13
	v_add_f32_e32 v22, v22, v35
	v_mov_b32_e32 v35, v13
	v_fmac_f32_e32 v13, 0x3f68dda4, v14
	v_add_f32_e32 v11, v11, v12
	v_mov_b32_e32 v34, v23
	v_add_f32_e32 v7, v13, v7
	v_sub_f32_e32 v12, v31, v32
	v_mul_f32_e32 v13, 0xbf75a155, v11
	v_fmac_f32_e32 v33, 0x3f0a6770, v14
	v_fmac_f32_e32 v34, 0x3e903f40, v14
	;; [unrolled: 1-line block ×4, first 2 shown]
	v_mov_b32_e32 v14, v13
	v_fmac_f32_e32 v13, 0xbe903f40, v12
	v_fmac_f32_e32 v14, 0x3e903f40, v12
	v_add_f32_e32 v13, v13, v18
	v_mul_f32_e32 v18, 0x3f575c64, v11
	v_add_f32_e32 v14, v14, v19
	v_mov_b32_e32 v19, v18
	v_fmac_f32_e32 v18, 0x3f0a6770, v12
	v_fmac_f32_e32 v19, 0xbf0a6770, v12
	v_add_f32_e32 v18, v18, v20
	v_mul_f32_e32 v20, 0xbf27a4f4, v11
	v_add_f32_e32 v41, v41, v45
	v_add_f32_e32 v19, v19, v22
	v_mov_b32_e32 v22, v20
	v_fmac_f32_e32 v20, 0xbf4178ce, v12
	v_add_f32_e32 v37, v37, v41
	v_add_f32_e32 v20, v20, v21
	v_mul_f32_e32 v21, 0x3ed4b147, v11
	v_add_f32_e32 v40, v40, v44
	v_add_f32_e32 v42, v42, v46
	v_add_f32_e32 v43, v43, v47
	v_add_f32_e32 v23, v23, v37
	v_mov_b32_e32 v31, v21
	v_fmac_f32_e32 v21, 0x3f68dda4, v12
	v_mul_f32_e32 v11, 0xbe11bafb, v11
	v_mul_u32_u24_e32 v10, 0xb0, v10
	v_add_f32_e32 v36, v36, v40
	v_add_f32_e32 v38, v38, v42
	;; [unrolled: 1-line block ×4, first 2 shown]
	v_mov_b32_e32 v23, v11
	v_or_b32_e32 v10, v10, v30
	v_add_f32_e32 v33, v33, v36
	v_add_f32_e32 v34, v34, v38
	;; [unrolled: 1-line block ×3, first 2 shown]
	v_fmac_f32_e32 v22, 0x3f4178ce, v12
	v_fmac_f32_e32 v31, 0xbf68dda4, v12
	;; [unrolled: 1-line block ×4, first 2 shown]
	v_lshl_add_u32 v10, v10, 2, 0
	v_add_f32_e32 v22, v22, v33
	v_add_f32_e32 v31, v31, v34
	;; [unrolled: 1-line block ×4, first 2 shown]
	ds_write2_b32 v10, v24, v14 offset1:16
	ds_write2_b32 v10, v19, v22 offset0:32 offset1:48
	ds_write2_b32 v10, v31, v23 offset0:64 offset1:80
	;; [unrolled: 1-line block ×4, first 2 shown]
	ds_write_b32 v10, v13 offset:640
.LBB0_51:
	s_or_b64 exec, exec, s[0:1]
	s_waitcnt lgkmcnt(0)
	s_barrier
	s_and_saveexec_b64 s[0:1], vcc
	s_cbranch_execz .LBB0_53
; %bb.52:
	v_mul_u32_u24_e32 v7, 6, v26
	v_lshlrev_b32_e32 v7, 3, v7
	global_load_dwordx4 v[10:13], v7, s[12:13] offset:1392
	global_load_dwordx4 v[18:21], v7, s[12:13] offset:1424
	;; [unrolled: 1-line block ×3, first 2 shown]
	v_mul_lo_u32 v7, s5, v3
	v_mul_lo_u32 v14, s4, v4
	v_mad_u64_u32 v[3:4], s[0:1], s4, v3, 0
	v_add_u32_e32 v24, 0xd00, v0
	ds_read2st64_b32 v[22:23], v0 offset1:11
	ds_read_b32 v0, v29 offset:2112
	ds_read_b32 v28, v28
	ds_read_b32 v29, v27
	ds_read2_b32 v[26:27], v24 offset0:48 offset1:224
	v_add3_u32 v4, v4, v14, v7
	s_mov_b32 s1, 0x3eae86e6
	s_mov_b32 s0, 0xbf5ff5aa
	;; [unrolled: 1-line block ×3, first 2 shown]
	v_lshlrev_b64 v[3:4], 3, v[3:4]
	v_add_co_u32_e32 v3, vcc, s10, v3
	s_waitcnt vmcnt(2)
	v_mul_f32_e32 v7, v17, v10
	s_waitcnt vmcnt(1)
	v_mul_f32_e32 v14, v9, v20
	;; [unrolled: 2-line block ×3, first 2 shown]
	v_mul_f32_e32 v34, v16, v30
	v_mul_f32_e32 v35, v15, v12
	v_mul_f32_e32 v36, v8, v18
	v_mul_f32_e32 v9, v9, v21
	v_mul_f32_e32 v17, v17, v11
	v_mul_f32_e32 v16, v16, v31
	v_mul_f32_e32 v6, v6, v33
	v_mul_f32_e32 v8, v8, v19
	v_mul_f32_e32 v15, v15, v13
	s_waitcnt lgkmcnt(2)
	v_fmac_f32_e32 v7, v28, v11
	s_waitcnt lgkmcnt(0)
	v_fmac_f32_e32 v14, v27, v21
	v_fmac_f32_e32 v24, v23, v33
	;; [unrolled: 1-line block ×5, first 2 shown]
	v_fma_f32 v9, v27, v20, -v9
	v_fma_f32 v10, v28, v10, -v17
	;; [unrolled: 1-line block ×6, first 2 shown]
	v_sub_f32_e32 v12, v7, v14
	v_sub_f32_e32 v13, v24, v34
	;; [unrolled: 1-line block ×3, first 2 shown]
	v_add_f32_e32 v16, v10, v9
	v_add_f32_e32 v17, v6, v0
	v_add_f32_e32 v18, v11, v8
	v_add_f32_e32 v14, v7, v14
	v_add_f32_e32 v7, v24, v34
	v_add_f32_e32 v19, v35, v36
	v_sub_f32_e32 v0, v6, v0
	v_sub_f32_e32 v11, v11, v8
	v_sub_f32_e32 v9, v10, v9
	v_add_f32_e32 v8, v13, v15
	v_sub_f32_e32 v20, v17, v18
	v_add_f32_e32 v21, v16, v18
	v_sub_f32_e32 v24, v7, v19
	;; [unrolled: 2-line block ×3, first 2 shown]
	v_sub_f32_e32 v10, v12, v13
	v_sub_f32_e32 v6, v13, v15
	v_sub_f32_e32 v23, v14, v7
	v_sub_f32_e32 v27, v9, v0
	v_add_f32_e32 v0, v0, v11
	v_add_f32_e32 v30, v12, v8
	v_mul_f32_e32 v20, 0x3d64c772, v20
	v_add_f32_e32 v8, v17, v21
	v_mul_f32_e32 v21, 0x3d64c772, v24
	;; [unrolled: 2-line block ×3, first 2 shown]
	v_sub_f32_e32 v12, v15, v12
	v_sub_f32_e32 v11, v11, v9
	;; [unrolled: 1-line block ×3, first 2 shown]
	v_mul_f32_e32 v29, 0x3f08b237, v6
	v_add_f32_e32 v0, v9, v0
	v_mov_b32_e32 v28, v20
	v_add_f32_e32 v6, v22, v8
	v_mov_b32_e32 v22, v21
	;; [unrolled: 2-line block ×3, first 2 shown]
	v_mul_f32_e32 v15, 0xbf5ff5aa, v12
	v_mul_f32_e32 v9, 0xbf5ff5aa, v11
	;; [unrolled: 1-line block ×4, first 2 shown]
	v_mov_b32_e32 v26, v29
	v_fmac_f32_e32 v28, 0x3f4a47b2, v13
	v_mov_b32_e32 v13, v6
	v_fmac_f32_e32 v22, 0x3f4a47b2, v23
	;; [unrolled: 2-line block ×3, first 2 shown]
	v_fma_f32 v33, v10, s1, -v15
	v_sub_f32_e32 v15, v18, v16
	v_sub_f32_e32 v14, v19, v14
	v_fma_f32 v27, v27, s1, -v9
	s_mov_b32 s1, 0x3f3bfb3b
	v_fmac_f32_e32 v26, 0xbeae86e6, v10
	v_fmac_f32_e32 v13, 0xbf955555, v8
	;; [unrolled: 1-line block ×3, first 2 shown]
	v_fma_f32 v10, v15, s2, -v31
	v_fma_f32 v16, v14, s2, -v17
	;; [unrolled: 1-line block ×4, first 2 shown]
	v_add_f32_e32 v28, v28, v13
	v_fmac_f32_e32 v32, 0xbee1c552, v0
	v_add_f32_e32 v18, v10, v13
	v_add_f32_e32 v17, v16, v23
	v_fmac_f32_e32 v27, 0xbee1c552, v0
	v_add_f32_e32 v15, v15, v13
	v_fma_f32 v16, v12, s0, -v29
	v_fmac_f32_e32 v19, 0xbee1c552, v0
	v_fma_f32 v0, v14, s1, -v21
	v_mad_u64_u32 v[13:14], s[0:1], s20, v25, 0
	v_fmac_f32_e32 v16, 0xbee1c552, v30
	v_add_f32_e32 v0, v0, v23
	v_sub_f32_e32 v12, v15, v16
	v_add_f32_e32 v11, v19, v0
	v_add_f32_e32 v16, v16, v15
	v_sub_f32_e32 v15, v0, v19
	v_mov_b32_e32 v0, v14
	v_mad_u64_u32 v[19:20], s[0:1], s21, v25, v[0:1]
	v_mov_b32_e32 v0, s11
	v_addc_co_u32_e32 v4, vcc, v0, v4, vcc
	v_lshlrev_b64 v[0:1], 3, v[1:2]
	v_add_f32_e32 v22, v22, v23
	v_mov_b32_e32 v14, v19
	v_add_co_u32_e32 v19, vcc, v3, v0
	v_sub_f32_e32 v7, v22, v32
	v_add_f32_e32 v20, v32, v22
	v_addc_co_u32_e32 v22, vcc, v4, v1, vcc
	v_add_u32_e32 v4, 0xb0, v25
	v_mad_u64_u32 v[2:3], s[0:1], s20, v4, 0
	v_lshlrev_b64 v[0:1], 3, v[13:14]
	v_fmac_f32_e32 v26, 0xbee1c552, v30
	v_mad_u64_u32 v[3:4], s[0:1], s21, v4, v[3:4]
	v_add_u32_e32 v4, 0x160, v25
	v_mad_u64_u32 v[13:14], s[0:1], s20, v4, 0
	v_add_co_u32_e32 v0, vcc, v19, v0
	v_addc_co_u32_e32 v1, vcc, v22, v1, vcc
	global_store_dwordx2 v[0:1], v[5:6], off
	v_lshlrev_b64 v[0:1], 3, v[2:3]
	v_mov_b32_e32 v2, v14
	v_mad_u64_u32 v[2:3], s[0:1], s21, v4, v[2:3]
	v_add_u32_e32 v4, 0x210, v25
	v_add_co_u32_e32 v0, vcc, v19, v0
	v_mov_b32_e32 v14, v2
	v_mad_u64_u32 v[2:3], s[0:1], s20, v4, 0
	v_sub_f32_e32 v21, v28, v26
	v_addc_co_u32_e32 v1, vcc, v22, v1, vcc
	v_mad_u64_u32 v[3:4], s[0:1], s21, v4, v[3:4]
	v_add_u32_e32 v6, 0x2c0, v25
	global_store_dwordx2 v[0:1], v[20:21], off
	v_lshlrev_b64 v[0:1], 3, v[13:14]
	v_mad_u64_u32 v[4:5], s[0:1], s20, v6, 0
	v_fmac_f32_e32 v33, 0xbee1c552, v30
	v_add_co_u32_e32 v0, vcc, v19, v0
	v_add_f32_e32 v10, v33, v18
	v_sub_f32_e32 v9, v17, v27
	v_sub_f32_e32 v18, v18, v33
	v_add_f32_e32 v17, v27, v17
	v_addc_co_u32_e32 v1, vcc, v22, v1, vcc
	global_store_dwordx2 v[0:1], v[17:18], off
	v_lshlrev_b64 v[0:1], 3, v[2:3]
	v_mov_b32_e32 v2, v5
	v_mad_u64_u32 v[2:3], s[0:1], s21, v6, v[2:3]
	v_add_co_u32_e32 v0, vcc, v19, v0
	v_addc_co_u32_e32 v1, vcc, v22, v1, vcc
	v_mov_b32_e32 v5, v2
	global_store_dwordx2 v[0:1], v[15:16], off
	v_lshlrev_b64 v[0:1], 3, v[4:5]
	v_add_u32_e32 v4, 0x370, v25
	v_mad_u64_u32 v[2:3], s[0:1], s20, v4, 0
	v_add_u32_e32 v6, 0x420, v25
	v_add_co_u32_e32 v0, vcc, v19, v0
	v_mad_u64_u32 v[3:4], s[0:1], s21, v4, v[3:4]
	v_mad_u64_u32 v[4:5], s[0:1], s20, v6, 0
	v_addc_co_u32_e32 v1, vcc, v22, v1, vcc
	global_store_dwordx2 v[0:1], v[11:12], off
	v_lshlrev_b64 v[0:1], 3, v[2:3]
	v_mov_b32_e32 v2, v5
	v_mad_u64_u32 v[2:3], s[0:1], s21, v6, v[2:3]
	v_add_co_u32_e32 v0, vcc, v19, v0
	v_addc_co_u32_e32 v1, vcc, v22, v1, vcc
	v_mov_b32_e32 v5, v2
	global_store_dwordx2 v[0:1], v[9:10], off
	v_lshlrev_b64 v[0:1], 3, v[4:5]
	v_add_f32_e32 v8, v26, v28
	v_add_co_u32_e32 v0, vcc, v19, v0
	v_addc_co_u32_e32 v1, vcc, v22, v1, vcc
	global_store_dwordx2 v[0:1], v[7:8], off
.LBB0_53:
	s_endpgm
	.section	.rodata,"a",@progbits
	.p2align	6, 0x0
	.amdhsa_kernel fft_rtc_back_len1232_factors_2_2_2_2_11_7_wgs_176_tpt_176_halfLds_sp_op_CI_CI_sbrr_dirReg
		.amdhsa_group_segment_fixed_size 0
		.amdhsa_private_segment_fixed_size 0
		.amdhsa_kernarg_size 104
		.amdhsa_user_sgpr_count 6
		.amdhsa_user_sgpr_private_segment_buffer 1
		.amdhsa_user_sgpr_dispatch_ptr 0
		.amdhsa_user_sgpr_queue_ptr 0
		.amdhsa_user_sgpr_kernarg_segment_ptr 1
		.amdhsa_user_sgpr_dispatch_id 0
		.amdhsa_user_sgpr_flat_scratch_init 0
		.amdhsa_user_sgpr_private_segment_size 0
		.amdhsa_uses_dynamic_stack 0
		.amdhsa_system_sgpr_private_segment_wavefront_offset 0
		.amdhsa_system_sgpr_workgroup_id_x 1
		.amdhsa_system_sgpr_workgroup_id_y 0
		.amdhsa_system_sgpr_workgroup_id_z 0
		.amdhsa_system_sgpr_workgroup_info 0
		.amdhsa_system_vgpr_workitem_id 0
		.amdhsa_next_free_vgpr 63
		.amdhsa_next_free_sgpr 32
		.amdhsa_reserve_vcc 1
		.amdhsa_reserve_flat_scratch 0
		.amdhsa_float_round_mode_32 0
		.amdhsa_float_round_mode_16_64 0
		.amdhsa_float_denorm_mode_32 3
		.amdhsa_float_denorm_mode_16_64 3
		.amdhsa_dx10_clamp 1
		.amdhsa_ieee_mode 1
		.amdhsa_fp16_overflow 0
		.amdhsa_exception_fp_ieee_invalid_op 0
		.amdhsa_exception_fp_denorm_src 0
		.amdhsa_exception_fp_ieee_div_zero 0
		.amdhsa_exception_fp_ieee_overflow 0
		.amdhsa_exception_fp_ieee_underflow 0
		.amdhsa_exception_fp_ieee_inexact 0
		.amdhsa_exception_int_div_zero 0
	.end_amdhsa_kernel
	.text
.Lfunc_end0:
	.size	fft_rtc_back_len1232_factors_2_2_2_2_11_7_wgs_176_tpt_176_halfLds_sp_op_CI_CI_sbrr_dirReg, .Lfunc_end0-fft_rtc_back_len1232_factors_2_2_2_2_11_7_wgs_176_tpt_176_halfLds_sp_op_CI_CI_sbrr_dirReg
                                        ; -- End function
	.section	.AMDGPU.csdata,"",@progbits
; Kernel info:
; codeLenInByte = 7644
; NumSgprs: 36
; NumVgprs: 63
; ScratchSize: 0
; MemoryBound: 0
; FloatMode: 240
; IeeeMode: 1
; LDSByteSize: 0 bytes/workgroup (compile time only)
; SGPRBlocks: 4
; VGPRBlocks: 15
; NumSGPRsForWavesPerEU: 36
; NumVGPRsForWavesPerEU: 63
; Occupancy: 4
; WaveLimiterHint : 1
; COMPUTE_PGM_RSRC2:SCRATCH_EN: 0
; COMPUTE_PGM_RSRC2:USER_SGPR: 6
; COMPUTE_PGM_RSRC2:TRAP_HANDLER: 0
; COMPUTE_PGM_RSRC2:TGID_X_EN: 1
; COMPUTE_PGM_RSRC2:TGID_Y_EN: 0
; COMPUTE_PGM_RSRC2:TGID_Z_EN: 0
; COMPUTE_PGM_RSRC2:TIDIG_COMP_CNT: 0
	.type	__hip_cuid_6dcb86ebf66b5c56,@object ; @__hip_cuid_6dcb86ebf66b5c56
	.section	.bss,"aw",@nobits
	.globl	__hip_cuid_6dcb86ebf66b5c56
__hip_cuid_6dcb86ebf66b5c56:
	.byte	0                               ; 0x0
	.size	__hip_cuid_6dcb86ebf66b5c56, 1

	.ident	"AMD clang version 19.0.0git (https://github.com/RadeonOpenCompute/llvm-project roc-6.4.0 25133 c7fe45cf4b819c5991fe208aaa96edf142730f1d)"
	.section	".note.GNU-stack","",@progbits
	.addrsig
	.addrsig_sym __hip_cuid_6dcb86ebf66b5c56
	.amdgpu_metadata
---
amdhsa.kernels:
  - .args:
      - .actual_access:  read_only
        .address_space:  global
        .offset:         0
        .size:           8
        .value_kind:     global_buffer
      - .offset:         8
        .size:           8
        .value_kind:     by_value
      - .actual_access:  read_only
        .address_space:  global
        .offset:         16
        .size:           8
        .value_kind:     global_buffer
      - .actual_access:  read_only
        .address_space:  global
        .offset:         24
        .size:           8
        .value_kind:     global_buffer
      - .actual_access:  read_only
        .address_space:  global
        .offset:         32
        .size:           8
        .value_kind:     global_buffer
      - .offset:         40
        .size:           8
        .value_kind:     by_value
      - .actual_access:  read_only
        .address_space:  global
        .offset:         48
        .size:           8
        .value_kind:     global_buffer
      - .actual_access:  read_only
        .address_space:  global
        .offset:         56
        .size:           8
        .value_kind:     global_buffer
      - .offset:         64
        .size:           4
        .value_kind:     by_value
      - .actual_access:  read_only
        .address_space:  global
        .offset:         72
        .size:           8
        .value_kind:     global_buffer
      - .actual_access:  read_only
        .address_space:  global
        .offset:         80
        .size:           8
        .value_kind:     global_buffer
      - .actual_access:  read_only
        .address_space:  global
        .offset:         88
        .size:           8
        .value_kind:     global_buffer
      - .actual_access:  write_only
        .address_space:  global
        .offset:         96
        .size:           8
        .value_kind:     global_buffer
    .group_segment_fixed_size: 0
    .kernarg_segment_align: 8
    .kernarg_segment_size: 104
    .language:       OpenCL C
    .language_version:
      - 2
      - 0
    .max_flat_workgroup_size: 176
    .name:           fft_rtc_back_len1232_factors_2_2_2_2_11_7_wgs_176_tpt_176_halfLds_sp_op_CI_CI_sbrr_dirReg
    .private_segment_fixed_size: 0
    .sgpr_count:     36
    .sgpr_spill_count: 0
    .symbol:         fft_rtc_back_len1232_factors_2_2_2_2_11_7_wgs_176_tpt_176_halfLds_sp_op_CI_CI_sbrr_dirReg.kd
    .uniform_work_group_size: 1
    .uses_dynamic_stack: false
    .vgpr_count:     63
    .vgpr_spill_count: 0
    .wavefront_size: 64
amdhsa.target:   amdgcn-amd-amdhsa--gfx906
amdhsa.version:
  - 1
  - 2
...

	.end_amdgpu_metadata
